;; amdgpu-corpus repo=llvm/llvm-project kind=harvested arch=n/a opt=n/a
// NOTE: Assertions have been autogenerated by utils/update_mc_test_checks.py UTC_ARGS: --unique --sort --version 5
// RUN: not llvm-mc -triple=amdgcn -mcpu=gfx1170 -mattr=+real-true16 -show-encoding %s 2>&1 | FileCheck --check-prefix=GFX1170 --implicit-check-not=error %s

v_max_num_f16_dpp v255.h, v1.h, v2.h dpp8:[7,6,5,4,3,2,1,0]
// GFX1170: :[[@LINE-1]]:19: error: invalid operand for instruction

v_max_num_f16_dpp v255.h, v1.h, v2.h quad_perm:[3,2,1,0]
// GFX1170: :[[@LINE-1]]:19: error: invalid operand for instruction

v_max_num_f16_dpp v255.l, v1.l, v2.l dpp8:[7,6,5,4,3,2,1,0]
// GFX1170: :[[@LINE-1]]:19: error: invalid operand for instruction

v_max_num_f16_dpp v255.l, v1.l, v2.l quad_perm:[3,2,1,0]
// GFX1170: :[[@LINE-1]]:19: error: invalid operand for instruction

v_max_num_f16_dpp v5.h, v1.h, v255.h dpp8:[7,6,5,4,3,2,1,0]
// GFX1170: :[[@LINE-1]]:31: error: invalid operand for instruction

v_max_num_f16_dpp v5.h, v1.h, v255.h quad_perm:[3,2,1,0]
// GFX1170: :[[@LINE-1]]:31: error: invalid operand for instruction

v_max_num_f16_dpp v5.h, v255.h, v2.h dpp8:[7,6,5,4,3,2,1,0]
// GFX1170: :[[@LINE-1]]:25: error: invalid operand for instruction

v_max_num_f16_dpp v5.h, v255.h, v2.h quad_perm:[3,2,1,0]
// GFX1170: :[[@LINE-1]]:25: error: invalid operand for instruction

v_max_num_f16_dpp v5.l, v1.l, v255.l dpp8:[7,6,5,4,3,2,1,0]
// GFX1170: :[[@LINE-1]]:31: error: invalid operand for instruction

v_max_num_f16_dpp v5.l, v1.l, v255.l quad_perm:[3,2,1,0]
// GFX1170: :[[@LINE-1]]:31: error: invalid operand for instruction

v_max_num_f16_dpp v5.l, v255.l, v2.l dpp8:[7,6,5,4,3,2,1,0]
// GFX1170: :[[@LINE-1]]:25: error: invalid operand for instruction

v_max_num_f16_dpp v5.l, v255.l, v2.l quad_perm:[3,2,1,0]
// GFX1170: :[[@LINE-1]]:25: error: invalid operand for instruction

v_max_num_f16_e32 v255.h, v1.h, v2.h
// GFX1170: :[[@LINE-1]]:19: error: invalid operand for instruction

v_max_num_f16_e32 v255.l, v1.l, v2.l
// GFX1170: :[[@LINE-1]]:19: error: invalid operand for instruction

v_max_num_f16_e32 v5.h, v1.h, v255.h
// GFX1170: :[[@LINE-1]]:31: error: invalid operand for instruction

v_max_num_f16_e32 v5.h, v255.h, v2.h
// GFX1170: :[[@LINE-1]]:25: error: invalid operand for instruction

v_max_num_f16_e32 v5.l, v1.l, v255.l
// GFX1170: :[[@LINE-1]]:31: error: invalid operand for instruction

v_max_num_f16_e32 v5.l, v255.l, v2.l
// GFX1170: :[[@LINE-1]]:25: error: invalid operand for instruction

v_min_num_f16_dpp v255.h, v1.h, v2.h dpp8:[7,6,5,4,3,2,1,0]
// GFX1170: :[[@LINE-1]]:19: error: invalid operand for instruction

v_min_num_f16_dpp v255.h, v1.h, v2.h quad_perm:[3,2,1,0]
// GFX1170: :[[@LINE-1]]:19: error: invalid operand for instruction

v_min_num_f16_dpp v255.l, v1.l, v2.l dpp8:[7,6,5,4,3,2,1,0]
// GFX1170: :[[@LINE-1]]:19: error: invalid operand for instruction

v_min_num_f16_dpp v255.l, v1.l, v2.l quad_perm:[3,2,1,0]
// GFX1170: :[[@LINE-1]]:19: error: invalid operand for instruction

v_min_num_f16_dpp v5.h, v1.h, v255.h dpp8:[7,6,5,4,3,2,1,0]
// GFX1170: :[[@LINE-1]]:31: error: invalid operand for instruction

v_min_num_f16_dpp v5.h, v1.h, v255.h quad_perm:[3,2,1,0]
// GFX1170: :[[@LINE-1]]:31: error: invalid operand for instruction

v_min_num_f16_dpp v5.h, v255.h, v2.h dpp8:[7,6,5,4,3,2,1,0]
// GFX1170: :[[@LINE-1]]:25: error: invalid operand for instruction

v_min_num_f16_dpp v5.h, v255.h, v2.h quad_perm:[3,2,1,0]
// GFX1170: :[[@LINE-1]]:25: error: invalid operand for instruction

v_min_num_f16_dpp v5.l, v1.l, v255.l dpp8:[7,6,5,4,3,2,1,0]
// GFX1170: :[[@LINE-1]]:31: error: invalid operand for instruction

v_min_num_f16_dpp v5.l, v1.l, v255.l quad_perm:[3,2,1,0]
// GFX1170: :[[@LINE-1]]:31: error: invalid operand for instruction

v_min_num_f16_dpp v5.l, v255.l, v2.l dpp8:[7,6,5,4,3,2,1,0]
// GFX1170: :[[@LINE-1]]:25: error: invalid operand for instruction

v_min_num_f16_dpp v5.l, v255.l, v2.l quad_perm:[3,2,1,0]
// GFX1170: :[[@LINE-1]]:25: error: invalid operand for instruction

v_min_num_f16_e32 v255.h, v1.h, v2.h
// GFX1170: :[[@LINE-1]]:19: error: invalid operand for instruction

v_min_num_f16_e32 v255.l, v1.l, v2.l
// GFX1170: :[[@LINE-1]]:19: error: invalid operand for instruction

v_min_num_f16_e32 v5.h, v1.h, v255.h
// GFX1170: :[[@LINE-1]]:31: error: invalid operand for instruction

v_min_num_f16_e32 v5.h, v255.h, v2.h
// GFX1170: :[[@LINE-1]]:25: error: invalid operand for instruction

v_min_num_f16_e32 v5.l, v1.l, v255.l
// GFX1170: :[[@LINE-1]]:31: error: invalid operand for instruction

v_min_num_f16_e32 v5.l, v255.l, v2.l
// GFX1170: :[[@LINE-1]]:25: error: invalid operand for instruction
